;; amdgpu-corpus repo=ROCm/rocFFT kind=compiled arch=gfx1030 opt=O3
	.text
	.amdgcn_target "amdgcn-amd-amdhsa--gfx1030"
	.amdhsa_code_object_version 6
	.protected	fft_rtc_fwd_len275_factors_11_5_5_wgs_55_tpt_55_dp_op_CI_CI_sbrr_dirReg ; -- Begin function fft_rtc_fwd_len275_factors_11_5_5_wgs_55_tpt_55_dp_op_CI_CI_sbrr_dirReg
	.globl	fft_rtc_fwd_len275_factors_11_5_5_wgs_55_tpt_55_dp_op_CI_CI_sbrr_dirReg
	.p2align	8
	.type	fft_rtc_fwd_len275_factors_11_5_5_wgs_55_tpt_55_dp_op_CI_CI_sbrr_dirReg,@function
fft_rtc_fwd_len275_factors_11_5_5_wgs_55_tpt_55_dp_op_CI_CI_sbrr_dirReg: ; @fft_rtc_fwd_len275_factors_11_5_5_wgs_55_tpt_55_dp_op_CI_CI_sbrr_dirReg
; %bb.0:
	s_clause 0x2
	s_load_dwordx4 s[16:19], s[4:5], 0x18
	s_load_dwordx4 s[12:15], s[4:5], 0x0
	;; [unrolled: 1-line block ×3, first 2 shown]
	v_mul_u32_u24_e32 v2, 0x4a8, v0
	v_mov_b32_e32 v1, 0
	v_mov_b32_e32 v48, 0
	;; [unrolled: 1-line block ×3, first 2 shown]
	s_waitcnt lgkmcnt(0)
	s_load_dwordx2 s[20:21], s[16:17], 0x0
	s_load_dwordx2 s[2:3], s[18:19], 0x0
	v_cmp_lt_u64_e64 s0, s[14:15], 2
	v_add_nc_u32_sdwa v3, s6, v2 dst_sel:DWORD dst_unused:UNUSED_PAD src0_sel:DWORD src1_sel:WORD_1
	v_mov_b32_e32 v4, v1
	s_and_b32 vcc_lo, exec_lo, s0
	s_cbranch_vccnz .LBB0_8
; %bb.1:
	s_load_dwordx2 s[0:1], s[4:5], 0x10
	v_mov_b32_e32 v48, 0
	v_mov_b32_e32 v49, 0
	s_add_u32 s6, s18, 8
	s_addc_u32 s7, s19, 0
	v_mov_b32_e32 v44, v48
	s_add_u32 s22, s16, 8
	v_mov_b32_e32 v45, v49
	s_addc_u32 s23, s17, 0
	s_mov_b64 s[26:27], 1
	s_waitcnt lgkmcnt(0)
	s_add_u32 s24, s0, 8
	s_addc_u32 s25, s1, 0
.LBB0_2:                                ; =>This Inner Loop Header: Depth=1
	s_load_dwordx2 s[28:29], s[24:25], 0x0
                                        ; implicit-def: $vgpr46_vgpr47
	s_mov_b32 s0, exec_lo
	s_waitcnt lgkmcnt(0)
	v_or_b32_e32 v2, s29, v4
	v_cmpx_ne_u64_e32 0, v[1:2]
	s_xor_b32 s1, exec_lo, s0
	s_cbranch_execz .LBB0_4
; %bb.3:                                ;   in Loop: Header=BB0_2 Depth=1
	v_cvt_f32_u32_e32 v2, s28
	v_cvt_f32_u32_e32 v5, s29
	s_sub_u32 s0, 0, s28
	s_subb_u32 s30, 0, s29
	v_fmac_f32_e32 v2, 0x4f800000, v5
	v_rcp_f32_e32 v2, v2
	v_mul_f32_e32 v2, 0x5f7ffffc, v2
	v_mul_f32_e32 v5, 0x2f800000, v2
	v_trunc_f32_e32 v5, v5
	v_fmac_f32_e32 v2, 0xcf800000, v5
	v_cvt_u32_f32_e32 v5, v5
	v_cvt_u32_f32_e32 v2, v2
	v_mul_lo_u32 v6, s0, v5
	v_mul_hi_u32 v7, s0, v2
	v_mul_lo_u32 v8, s30, v2
	v_add_nc_u32_e32 v6, v7, v6
	v_mul_lo_u32 v7, s0, v2
	v_add_nc_u32_e32 v6, v6, v8
	v_mul_hi_u32 v8, v2, v7
	v_mul_lo_u32 v9, v2, v6
	v_mul_hi_u32 v10, v2, v6
	v_mul_hi_u32 v11, v5, v7
	v_mul_lo_u32 v7, v5, v7
	v_mul_hi_u32 v12, v5, v6
	v_mul_lo_u32 v6, v5, v6
	v_add_co_u32 v8, vcc_lo, v8, v9
	v_add_co_ci_u32_e32 v9, vcc_lo, 0, v10, vcc_lo
	v_add_co_u32 v7, vcc_lo, v8, v7
	v_add_co_ci_u32_e32 v7, vcc_lo, v9, v11, vcc_lo
	v_add_co_ci_u32_e32 v8, vcc_lo, 0, v12, vcc_lo
	v_add_co_u32 v6, vcc_lo, v7, v6
	v_add_co_ci_u32_e32 v7, vcc_lo, 0, v8, vcc_lo
	v_add_co_u32 v2, vcc_lo, v2, v6
	v_add_co_ci_u32_e32 v5, vcc_lo, v5, v7, vcc_lo
	v_mul_hi_u32 v6, s0, v2
	v_mul_lo_u32 v8, s30, v2
	v_mul_lo_u32 v7, s0, v5
	v_add_nc_u32_e32 v6, v6, v7
	v_mul_lo_u32 v7, s0, v2
	v_add_nc_u32_e32 v6, v6, v8
	v_mul_hi_u32 v8, v2, v7
	v_mul_lo_u32 v9, v2, v6
	v_mul_hi_u32 v10, v2, v6
	v_mul_hi_u32 v11, v5, v7
	v_mul_lo_u32 v7, v5, v7
	v_mul_hi_u32 v12, v5, v6
	v_mul_lo_u32 v6, v5, v6
	v_add_co_u32 v8, vcc_lo, v8, v9
	v_add_co_ci_u32_e32 v9, vcc_lo, 0, v10, vcc_lo
	v_add_co_u32 v7, vcc_lo, v8, v7
	v_add_co_ci_u32_e32 v7, vcc_lo, v9, v11, vcc_lo
	v_add_co_ci_u32_e32 v8, vcc_lo, 0, v12, vcc_lo
	v_add_co_u32 v6, vcc_lo, v7, v6
	v_add_co_ci_u32_e32 v7, vcc_lo, 0, v8, vcc_lo
	v_add_co_u32 v2, vcc_lo, v2, v6
	v_add_co_ci_u32_e32 v9, vcc_lo, v5, v7, vcc_lo
	v_mul_hi_u32 v11, v3, v2
	v_mad_u64_u32 v[7:8], null, v4, v2, 0
	v_mad_u64_u32 v[5:6], null, v3, v9, 0
	v_mad_u64_u32 v[9:10], null, v4, v9, 0
	v_add_co_u32 v2, vcc_lo, v11, v5
	v_add_co_ci_u32_e32 v5, vcc_lo, 0, v6, vcc_lo
	v_add_co_u32 v2, vcc_lo, v2, v7
	v_add_co_ci_u32_e32 v2, vcc_lo, v5, v8, vcc_lo
	v_add_co_ci_u32_e32 v5, vcc_lo, 0, v10, vcc_lo
	v_add_co_u32 v2, vcc_lo, v2, v9
	v_add_co_ci_u32_e32 v7, vcc_lo, 0, v5, vcc_lo
	v_mul_lo_u32 v8, s29, v2
	v_mad_u64_u32 v[5:6], null, s28, v2, 0
	v_mul_lo_u32 v9, s28, v7
	v_sub_co_u32 v5, vcc_lo, v3, v5
	v_add3_u32 v6, v6, v9, v8
	v_sub_nc_u32_e32 v8, v4, v6
	v_subrev_co_ci_u32_e64 v8, s0, s29, v8, vcc_lo
	v_add_co_u32 v9, s0, v2, 2
	v_add_co_ci_u32_e64 v10, s0, 0, v7, s0
	v_sub_co_u32 v11, s0, v5, s28
	v_sub_co_ci_u32_e32 v6, vcc_lo, v4, v6, vcc_lo
	v_subrev_co_ci_u32_e64 v8, s0, 0, v8, s0
	v_cmp_le_u32_e32 vcc_lo, s28, v11
	v_cmp_eq_u32_e64 s0, s29, v6
	v_cndmask_b32_e64 v11, 0, -1, vcc_lo
	v_cmp_le_u32_e32 vcc_lo, s29, v8
	v_cndmask_b32_e64 v12, 0, -1, vcc_lo
	v_cmp_le_u32_e32 vcc_lo, s28, v5
	;; [unrolled: 2-line block ×3, first 2 shown]
	v_cndmask_b32_e64 v13, 0, -1, vcc_lo
	v_cmp_eq_u32_e32 vcc_lo, s29, v8
	v_cndmask_b32_e64 v5, v13, v5, s0
	v_cndmask_b32_e32 v8, v12, v11, vcc_lo
	v_add_co_u32 v11, vcc_lo, v2, 1
	v_add_co_ci_u32_e32 v12, vcc_lo, 0, v7, vcc_lo
	v_cmp_ne_u32_e32 vcc_lo, 0, v8
	v_cndmask_b32_e32 v6, v12, v10, vcc_lo
	v_cndmask_b32_e32 v8, v11, v9, vcc_lo
	v_cmp_ne_u32_e32 vcc_lo, 0, v5
	v_cndmask_b32_e32 v47, v7, v6, vcc_lo
	v_cndmask_b32_e32 v46, v2, v8, vcc_lo
.LBB0_4:                                ;   in Loop: Header=BB0_2 Depth=1
	s_andn2_saveexec_b32 s0, s1
	s_cbranch_execz .LBB0_6
; %bb.5:                                ;   in Loop: Header=BB0_2 Depth=1
	v_cvt_f32_u32_e32 v2, s28
	s_sub_i32 s1, 0, s28
	v_mov_b32_e32 v47, v1
	v_rcp_iflag_f32_e32 v2, v2
	v_mul_f32_e32 v2, 0x4f7ffffe, v2
	v_cvt_u32_f32_e32 v2, v2
	v_mul_lo_u32 v5, s1, v2
	v_mul_hi_u32 v5, v2, v5
	v_add_nc_u32_e32 v2, v2, v5
	v_mul_hi_u32 v2, v3, v2
	v_mul_lo_u32 v5, v2, s28
	v_add_nc_u32_e32 v6, 1, v2
	v_sub_nc_u32_e32 v5, v3, v5
	v_subrev_nc_u32_e32 v7, s28, v5
	v_cmp_le_u32_e32 vcc_lo, s28, v5
	v_cndmask_b32_e32 v5, v5, v7, vcc_lo
	v_cndmask_b32_e32 v2, v2, v6, vcc_lo
	v_cmp_le_u32_e32 vcc_lo, s28, v5
	v_add_nc_u32_e32 v6, 1, v2
	v_cndmask_b32_e32 v46, v2, v6, vcc_lo
.LBB0_6:                                ;   in Loop: Header=BB0_2 Depth=1
	s_or_b32 exec_lo, exec_lo, s0
	v_mul_lo_u32 v2, v47, s28
	v_mul_lo_u32 v7, v46, s29
	s_load_dwordx2 s[0:1], s[22:23], 0x0
	v_mad_u64_u32 v[5:6], null, v46, s28, 0
	s_load_dwordx2 s[28:29], s[6:7], 0x0
	s_add_u32 s26, s26, 1
	s_addc_u32 s27, s27, 0
	s_add_u32 s6, s6, 8
	s_addc_u32 s7, s7, 0
	s_add_u32 s22, s22, 8
	v_add3_u32 v2, v6, v7, v2
	v_sub_co_u32 v3, vcc_lo, v3, v5
	s_addc_u32 s23, s23, 0
	s_add_u32 s24, s24, 8
	v_sub_co_ci_u32_e32 v2, vcc_lo, v4, v2, vcc_lo
	s_addc_u32 s25, s25, 0
	s_waitcnt lgkmcnt(0)
	v_mul_lo_u32 v4, s0, v2
	v_mul_lo_u32 v5, s1, v3
	v_mad_u64_u32 v[48:49], null, s0, v3, v[48:49]
	v_mul_lo_u32 v2, s28, v2
	v_mul_lo_u32 v6, s29, v3
	v_mad_u64_u32 v[44:45], null, s28, v3, v[44:45]
	v_cmp_ge_u64_e64 s0, s[26:27], s[14:15]
	v_add3_u32 v49, v5, v49, v4
	v_add3_u32 v45, v6, v45, v2
	s_and_b32 vcc_lo, exec_lo, s0
	s_cbranch_vccnz .LBB0_9
; %bb.7:                                ;   in Loop: Header=BB0_2 Depth=1
	v_mov_b32_e32 v3, v46
	v_mov_b32_e32 v4, v47
	s_branch .LBB0_2
.LBB0_8:
	v_mov_b32_e32 v44, v48
	v_mov_b32_e32 v47, v4
	;; [unrolled: 1-line block ×4, first 2 shown]
.LBB0_9:
	s_load_dwordx2 s[0:1], s[4:5], 0x28
	s_lshl_b64 s[6:7], s[14:15], 3
	v_mul_hi_u32 v1, 0x4a7904b, v0
	s_add_u32 s4, s18, s6
	s_addc_u32 s5, s19, s7
	v_mov_b32_e32 v67, 0
	s_load_dwordx2 s[4:5], s[4:5], 0x0
                                        ; implicit-def: $vgpr6_vgpr7
                                        ; implicit-def: $vgpr10_vgpr11
                                        ; implicit-def: $vgpr14_vgpr15
                                        ; implicit-def: $vgpr18_vgpr19
                                        ; implicit-def: $vgpr22_vgpr23
                                        ; implicit-def: $vgpr38_vgpr39
                                        ; implicit-def: $vgpr42_vgpr43
                                        ; implicit-def: $vgpr34_vgpr35
                                        ; implicit-def: $vgpr30_vgpr31
                                        ; implicit-def: $vgpr26_vgpr27
                                        ; implicit-def: $vgpr2_vgpr3
	v_mul_u32_u24_e32 v1, 55, v1
	v_sub_nc_u32_e32 v66, v0, v1
	s_waitcnt lgkmcnt(0)
	v_cmp_gt_u64_e32 vcc_lo, s[0:1], v[46:47]
	s_and_saveexec_b32 s14, vcc_lo
	s_cbranch_execz .LBB0_13
; %bb.10:
	s_mov_b32 s15, exec_lo
                                        ; implicit-def: $vgpr0_vgpr1
                                        ; implicit-def: $vgpr24_vgpr25
                                        ; implicit-def: $vgpr28_vgpr29
                                        ; implicit-def: $vgpr32_vgpr33
                                        ; implicit-def: $vgpr40_vgpr41
                                        ; implicit-def: $vgpr36_vgpr37
                                        ; implicit-def: $vgpr20_vgpr21
                                        ; implicit-def: $vgpr16_vgpr17
                                        ; implicit-def: $vgpr12_vgpr13
                                        ; implicit-def: $vgpr8_vgpr9
                                        ; implicit-def: $vgpr4_vgpr5
	v_cmpx_gt_u32_e32 25, v66
	s_cbranch_execz .LBB0_12
; %bb.11:
	s_add_u32 s0, s16, s6
	s_addc_u32 s1, s17, s7
	v_add_nc_u32_e32 v15, 25, v66
	s_load_dwordx2 s[0:1], s[0:1], 0x0
	v_add_nc_u32_e32 v17, 50, v66
	v_mad_u64_u32 v[0:1], null, s20, v66, 0
	v_mad_u64_u32 v[2:3], null, s20, v15, 0
	;; [unrolled: 1-line block ×3, first 2 shown]
	v_add_nc_u32_e32 v18, 0x4b, v66
	v_add_nc_u32_e32 v19, 0x64, v66
	;; [unrolled: 1-line block ×3, first 2 shown]
	v_mad_u64_u32 v[10:11], null, s21, v66, v[1:2]
	v_lshlrev_b64 v[11:12], 4, v[48:49]
	v_mad_u64_u32 v[8:9], null, s20, v18, 0
	v_mad_u64_u32 v[13:14], null, s20, v19, 0
	v_add_nc_u32_e32 v48, 0xfa, v66
	s_waitcnt lgkmcnt(0)
	v_mul_lo_u32 v16, s1, v46
	v_mul_lo_u32 v20, s0, v47
	v_mad_u64_u32 v[6:7], null, s0, v46, 0
	v_mov_b32_e32 v1, v10
	v_mad_u64_u32 v[9:10], null, s21, v18, v[9:10]
	v_add_nc_u32_e32 v18, 0xaf, v66
	v_lshlrev_b64 v[0:1], 4, v[0:1]
	v_add3_u32 v7, v7, v20, v16
	v_mad_u64_u32 v[15:16], null, s21, v15, v[3:4]
	v_lshlrev_b64 v[8:9], 4, v[8:9]
	v_add_nc_u32_e32 v20, 0xc8, v66
	v_lshlrev_b64 v[6:7], 4, v[6:7]
	v_mov_b32_e32 v3, v15
	v_add_nc_u32_e32 v15, 0x7d, v66
	v_mad_u64_u32 v[16:17], null, s21, v17, v[5:6]
	v_add_co_u32 v5, s0, s8, v6
	v_add_co_ci_u32_e64 v6, s0, s9, v7, s0
	v_lshlrev_b64 v[2:3], 4, v[2:3]
	v_add_co_u32 v21, s0, v5, v11
	v_add_co_ci_u32_e64 v22, s0, v6, v12, s0
	v_mad_u64_u32 v[10:11], null, s20, v15, 0
	v_add_co_u32 v0, s0, v21, v0
	v_add_co_ci_u32_e64 v1, s0, v22, v1, s0
	v_add_co_u32 v6, s0, v21, v2
	v_mov_b32_e32 v12, v14
	v_add_co_ci_u32_e64 v7, s0, v22, v3, s0
	s_clause 0x1
	global_load_dwordx4 v[0:3], v[0:1], off
	global_load_dwordx4 v[24:27], v[6:7], off
	v_mad_u64_u32 v[6:7], null, s21, v19, v[12:13]
	v_mov_b32_e32 v5, v16
	v_mov_b32_e32 v7, v11
	v_add_nc_u32_e32 v16, 0x96, v66
	v_lshlrev_b64 v[4:5], 4, v[4:5]
	v_mov_b32_e32 v14, v6
	v_mad_u64_u32 v[6:7], null, s21, v15, v[7:8]
	v_add_co_u32 v4, s0, v21, v4
	v_add_co_ci_u32_e64 v5, s0, v22, v5, s0
	v_lshlrev_b64 v[12:13], 4, v[13:14]
	v_mad_u64_u32 v[14:15], null, s20, v16, 0
	v_add_co_u32 v7, s0, v21, v8
	v_mov_b32_e32 v11, v6
	v_add_co_ci_u32_e64 v8, s0, v22, v9, s0
	s_clause 0x1
	global_load_dwordx4 v[28:31], v[4:5], off
	global_load_dwordx4 v[32:35], v[7:8], off
	v_lshlrev_b64 v[7:8], 4, v[10:11]
	v_mov_b32_e32 v6, v15
	v_add_co_u32 v4, s0, v21, v12
	v_add_co_ci_u32_e64 v5, s0, v22, v13, s0
	v_mad_u64_u32 v[9:10], null, s21, v16, v[6:7]
	v_mad_u64_u32 v[10:11], null, s20, v18, 0
	;; [unrolled: 1-line block ×3, first 2 shown]
	v_add_co_u32 v6, s0, v21, v7
	v_add_co_ci_u32_e64 v7, s0, v22, v8, s0
	v_mov_b32_e32 v15, v9
	v_mov_b32_e32 v8, v11
	;; [unrolled: 1-line block ×3, first 2 shown]
	v_mad_u64_u32 v[16:17], null, s20, v23, 0
	s_clause 0x1
	global_load_dwordx4 v[40:43], v[4:5], off
	global_load_dwordx4 v[36:39], v[6:7], off
	v_lshlrev_b64 v[5:6], 4, v[14:15]
	v_mad_u64_u32 v[18:19], null, s21, v18, v[8:9]
	v_mad_u64_u32 v[8:9], null, s21, v20, v[9:10]
	;; [unrolled: 1-line block ×3, first 2 shown]
	v_mov_b32_e32 v4, v17
	v_mov_b32_e32 v11, v18
	;; [unrolled: 1-line block ×3, first 2 shown]
	v_mad_u64_u32 v[7:8], null, s21, v23, v[4:5]
	v_mov_b32_e32 v4, v20
	v_add_co_u32 v5, s0, v21, v5
	v_lshlrev_b64 v[8:9], 4, v[10:11]
	v_add_co_ci_u32_e64 v6, s0, v22, v6, s0
	v_mad_u64_u32 v[10:11], null, s21, v48, v[4:5]
	v_lshlrev_b64 v[11:12], 4, v[12:13]
	v_mov_b32_e32 v17, v7
	v_add_co_u32 v7, s0, v21, v8
	v_add_co_ci_u32_e64 v8, s0, v22, v9, s0
	v_mov_b32_e32 v20, v10
	v_lshlrev_b64 v[13:14], 4, v[16:17]
	v_add_co_u32 v9, s0, v21, v11
	v_add_co_ci_u32_e64 v10, s0, v22, v12, s0
	v_lshlrev_b64 v[11:12], 4, v[19:20]
	v_add_co_u32 v48, s0, v21, v13
	v_add_co_ci_u32_e64 v49, s0, v22, v14, s0
	v_add_co_u32 v50, s0, v21, v11
	v_add_co_ci_u32_e64 v51, s0, v22, v12, s0
	s_clause 0x4
	global_load_dwordx4 v[20:23], v[5:6], off
	global_load_dwordx4 v[16:19], v[7:8], off
	;; [unrolled: 1-line block ×5, first 2 shown]
.LBB0_12:
	s_or_b32 exec_lo, exec_lo, s15
	v_mov_b32_e32 v67, v66
.LBB0_13:
	s_or_b32 exec_lo, exec_lo, s14
	s_mov_b32 s33, exec_lo
	v_cmpx_gt_u32_e32 25, v66
	s_cbranch_execz .LBB0_15
; %bb.14:
	s_waitcnt vmcnt(9)
	v_add_f64 v[48:49], v[26:27], v[2:3]
	v_add_f64 v[50:51], v[24:25], v[0:1]
	s_waitcnt vmcnt(0)
	v_add_f64 v[72:73], v[24:25], -v[4:5]
	v_add_f64 v[74:75], v[26:27], -v[6:7]
	v_add_f64 v[58:59], v[18:19], v[42:43]
	v_add_f64 v[64:65], v[42:43], -v[18:19]
	s_mov_b32 s8, 0xfd768dbf
	s_mov_b32 s18, 0xbb3a28a1
	;; [unrolled: 1-line block ×4, first 2 shown]
	v_add_f64 v[52:53], v[36:37], -v[20:21]
	v_add_f64 v[56:57], v[38:39], -v[22:23]
	;; [unrolled: 1-line block ×3, first 2 shown]
	v_add_f64 v[60:61], v[14:15], v[34:35]
	v_add_f64 v[54:55], v[16:17], v[40:41]
	v_add_f64 v[76:77], v[32:33], -v[12:13]
	v_add_f64 v[78:79], v[6:7], v[26:27]
	v_add_f64 v[26:27], v[12:13], v[32:33]
	v_add_f64 v[24:25], v[4:5], v[24:25]
	s_mov_b32 s14, 0xf8bb580b
	s_mov_b32 s0, 0x9bcd5057
	;; [unrolled: 1-line block ×3, first 2 shown]
	v_add_f64 v[48:49], v[30:31], v[48:49]
	v_add_f64 v[50:51], v[28:29], v[50:51]
	s_mov_b32 s22, 0x43842ef
	v_mul_f64 v[80:81], v[74:75], s[18:19]
	s_mov_b32 s15, 0x3fe14ced
	s_mov_b32 s1, 0xbfeeb42a
	;; [unrolled: 1-line block ×6, first 2 shown]
	v_mul_f64 v[86:87], v[72:73], s[22:23]
	s_mov_b32 s6, 0x8764f0ba
	s_mov_b32 s20, 0x640f44db
	;; [unrolled: 1-line block ×8, first 2 shown]
	v_mul_f64 v[98:99], v[76:77], s[18:19]
	v_mul_f64 v[102:103], v[76:77], s[26:27]
	s_mov_b32 s35, 0x3fed1bb4
	v_add_f64 v[68:69], v[34:35], v[48:49]
	v_add_f64 v[70:71], v[32:33], v[50:51]
	;; [unrolled: 1-line block ×4, first 2 shown]
	v_add_f64 v[32:33], v[34:35], -v[14:15]
	v_fma_f64 v[112:113], v[24:25], s[16:17], v[80:81]
	v_fma_f64 v[80:81], v[24:25], s[16:17], -v[80:81]
	s_mov_b32 s34, 0x8eee2c13
	s_mov_b32 s28, 0xd9c712b6
	v_mul_f64 v[108:109], v[76:77], s[34:35]
	v_fma_f64 v[118:119], v[78:79], s[20:21], v[86:87]
	v_mul_f64 v[114:115], v[62:63], s[34:35]
	s_mov_b32 s29, 0x3fda9628
	v_mul_f64 v[122:123], v[62:63], s[8:9]
	v_fma_f64 v[86:87], v[78:79], s[20:21], -v[86:87]
	v_add_f64 v[42:43], v[42:43], v[68:69]
	v_add_f64 v[68:69], v[40:41], v[70:71]
	v_add_f64 v[70:71], v[28:29], -v[8:9]
	v_add_f64 v[40:41], v[10:11], v[30:31]
	v_add_f64 v[30:31], v[30:31], -v[10:11]
	v_add_f64 v[28:29], v[8:9], v[28:29]
	v_mul_f64 v[100:101], v[32:33], s[18:19]
	v_mul_f64 v[104:105], v[32:33], s[26:27]
	v_add_f64 v[112:113], v[0:1], v[112:113]
	v_mul_f64 v[110:111], v[32:33], s[34:35]
	v_add_f64 v[80:81], v[0:1], v[80:81]
	v_add_f64 v[118:119], v[2:3], v[118:119]
	;; [unrolled: 1-line block ×5, first 2 shown]
	v_mul_f64 v[38:39], v[72:73], s[8:9]
	v_mul_f64 v[42:43], v[74:75], s[8:9]
	;; [unrolled: 1-line block ×8, first 2 shown]
	v_add_f64 v[22:23], v[22:23], v[34:35]
	v_add_f64 v[20:21], v[20:21], v[36:37]
	v_mul_f64 v[34:35], v[74:75], s[22:23]
	v_mul_f64 v[36:37], v[70:71], s[24:25]
	v_fma_f64 v[88:89], v[78:79], s[0:1], -v[38:39]
	v_fma_f64 v[96:97], v[24:25], s[0:1], v[42:43]
	v_fma_f64 v[38:39], v[78:79], s[0:1], v[38:39]
	v_fma_f64 v[42:43], v[24:25], s[0:1], -v[42:43]
	v_fma_f64 v[106:107], v[78:79], s[16:17], -v[68:69]
	v_fma_f64 v[68:69], v[78:79], s[16:17], v[68:69]
	v_fma_f64 v[116:117], v[28:29], s[6:7], v[84:85]
	v_fma_f64 v[84:85], v[28:29], s[6:7], -v[84:85]
	v_fma_f64 v[126:127], v[28:29], s[20:21], v[90:91]
	v_fma_f64 v[90:91], v[28:29], s[20:21], -v[90:91]
	v_add_f64 v[18:19], v[18:19], v[22:23]
	v_add_f64 v[16:17], v[16:17], v[20:21]
	v_fma_f64 v[22:23], v[40:41], s[6:7], -v[82:83]
	v_fma_f64 v[120:121], v[24:25], s[20:21], -v[34:35]
	v_add_f64 v[88:89], v[2:3], v[88:89]
	v_add_f64 v[96:97], v[0:1], v[96:97]
	v_fma_f64 v[82:83], v[40:41], s[6:7], v[82:83]
	v_add_f64 v[38:39], v[2:3], v[38:39]
	v_add_f64 v[42:43], v[0:1], v[42:43]
	v_fma_f64 v[124:125], v[40:41], s[20:21], -v[36:37]
	v_fma_f64 v[36:37], v[40:41], s[20:21], v[36:37]
	v_add_f64 v[68:69], v[2:3], v[68:69]
	v_add_f64 v[106:107], v[2:3], v[106:107]
	v_mul_f64 v[20:21], v[64:65], s[34:35]
	v_add_f64 v[112:113], v[126:127], v[112:113]
	v_fma_f64 v[126:127], v[60:61], s[6:7], -v[102:103]
	v_fma_f64 v[102:103], v[60:61], s[6:7], v[102:103]
	v_add_f64 v[80:81], v[90:91], v[80:81]
	v_mul_f64 v[90:91], v[72:73], s[26:27]
	v_fma_f64 v[34:35], v[24:25], s[20:21], v[34:35]
	v_add_f64 v[14:15], v[14:15], v[18:19]
	v_add_f64 v[12:13], v[12:13], v[16:17]
	v_mul_f64 v[16:17], v[64:65], s[8:9]
	v_fma_f64 v[18:19], v[40:41], s[0:1], v[92:93]
	v_add_f64 v[22:23], v[22:23], v[88:89]
	v_fma_f64 v[88:89], v[28:29], s[0:1], -v[94:95]
	v_add_f64 v[120:121], v[0:1], v[120:121]
	v_add_f64 v[96:97], v[116:117], v[96:97]
	v_fma_f64 v[116:117], v[60:61], s[16:17], -v[98:99]
	v_add_f64 v[38:39], v[82:83], v[38:39]
	v_fma_f64 v[82:83], v[26:27], s[16:17], v[100:101]
	v_add_f64 v[42:43], v[84:85], v[42:43]
	v_fma_f64 v[98:99], v[60:61], s[16:17], v[98:99]
	v_fma_f64 v[100:101], v[26:27], s[16:17], -v[100:101]
	v_add_f64 v[36:37], v[36:37], v[68:69]
	v_fma_f64 v[68:69], v[26:27], s[6:7], v[104:105]
	v_mul_f64 v[84:85], v[52:53], s[34:35]
	v_add_f64 v[106:107], v[124:125], v[106:107]
	v_mul_f64 v[124:125], v[56:57], s[34:35]
	s_mov_b32 s35, 0xbfed1bb4
	v_fma_f64 v[104:105], v[26:27], s[6:7], -v[104:105]
	v_mul_f64 v[72:73], v[72:73], s[34:35]
	v_add_f64 v[10:11], v[10:11], v[14:15]
	v_add_f64 v[8:9], v[8:9], v[12:13]
	v_add_f64 v[34:35], v[0:1], v[34:35]
	v_add_f64 v[18:19], v[18:19], v[118:119]
	v_mul_f64 v[118:119], v[74:75], s[34:35]
	v_mul_f64 v[74:75], v[74:75], s[26:27]
	v_add_f64 v[88:89], v[88:89], v[120:121]
	v_fma_f64 v[120:121], v[60:61], s[28:29], v[108:109]
	v_add_f64 v[22:23], v[116:117], v[22:23]
	v_fma_f64 v[116:117], v[26:27], s[28:29], -v[110:111]
	v_add_f64 v[82:83], v[82:83], v[96:97]
	v_fma_f64 v[96:97], v[58:59], s[28:29], -v[114:115]
	v_add_f64 v[38:39], v[98:99], v[38:39]
	v_mul_f64 v[98:99], v[62:63], s[26:27]
	v_add_f64 v[42:43], v[100:101], v[42:43]
	v_fma_f64 v[100:101], v[54:55], s[28:29], v[20:21]
	v_fma_f64 v[20:21], v[54:55], s[28:29], -v[20:21]
	v_add_f64 v[68:69], v[68:69], v[112:113]
	v_add_f64 v[36:37], v[102:103], v[36:37]
	v_fma_f64 v[102:103], v[54:55], s[0:1], v[16:17]
	v_add_f64 v[106:107], v[126:127], v[106:107]
	v_mul_f64 v[126:127], v[70:71], s[18:19]
	v_fma_f64 v[114:115], v[58:59], s[28:29], v[114:115]
	v_fma_f64 v[112:113], v[58:59], s[0:1], -v[122:123]
	v_add_f64 v[80:81], v[104:105], v[80:81]
	v_mul_f64 v[104:105], v[30:31], s[18:19]
	v_mul_f64 v[70:71], v[70:71], s[34:35]
	v_mul_f64 v[30:31], v[30:31], s[34:35]
	v_fma_f64 v[16:17], v[54:55], s[0:1], -v[16:17]
	v_add_f64 v[18:19], v[120:121], v[18:19]
	v_fma_f64 v[120:121], v[78:79], s[28:29], v[72:73]
	v_add_f64 v[88:89], v[116:117], v[88:89]
	v_fma_f64 v[116:117], v[24:25], s[28:29], -v[118:119]
	v_add_f64 v[22:23], v[96:97], v[22:23]
	v_fma_f64 v[96:97], v[78:79], s[6:7], v[90:91]
	v_fma_f64 v[72:73], v[78:79], s[28:29], -v[72:73]
	v_fma_f64 v[14:15], v[58:59], s[6:7], v[98:99]
	v_add_f64 v[82:83], v[100:101], v[82:83]
	v_fma_f64 v[100:101], v[24:25], s[6:7], -v[74:75]
	v_add_f64 v[20:21], v[20:21], v[42:43]
	v_fma_f64 v[92:93], v[40:41], s[0:1], -v[92:93]
	;; [unrolled: 2-line block ×3, first 2 shown]
	v_fma_f64 v[78:79], v[24:25], s[28:29], v[118:119]
	v_fma_f64 v[24:25], v[24:25], s[6:7], v[74:75]
	v_add_f64 v[38:39], v[114:115], v[38:39]
	v_add_f64 v[12:13], v[112:113], v[106:107]
	v_mul_f64 v[74:75], v[64:65], s[26:27]
	v_fma_f64 v[106:107], v[40:41], s[16:17], v[126:127]
	v_mul_f64 v[112:113], v[76:77], s[30:31]
	v_fma_f64 v[114:115], v[28:29], s[16:17], -v[104:105]
	v_fma_f64 v[118:119], v[40:41], s[28:29], v[70:71]
	v_add_f64 v[90:91], v[2:3], v[120:121]
	v_mul_f64 v[76:77], v[76:77], s[22:23]
	v_add_f64 v[102:103], v[0:1], v[116:117]
	v_mul_f64 v[116:117], v[32:33], s[30:31]
	v_add_f64 v[96:97], v[2:3], v[96:97]
	v_add_f64 v[72:73], v[2:3], v[72:73]
	v_fma_f64 v[120:121], v[28:29], s[28:29], -v[30:31]
	v_mul_f64 v[32:33], v[32:33], s[22:23]
	v_add_f64 v[100:101], v[0:1], v[100:101]
	v_fma_f64 v[94:95], v[28:29], s[0:1], v[94:95]
	v_fma_f64 v[126:127], v[40:41], s[16:17], -v[126:127]
	v_add_f64 v[16:17], v[16:17], v[80:81]
	v_add_f64 v[80:81], v[14:15], v[18:19]
	;; [unrolled: 1-line block ×3, first 2 shown]
	v_fma_f64 v[18:19], v[28:29], s[16:17], v[104:105]
	v_add_f64 v[2:3], v[2:3], v[68:69]
	v_fma_f64 v[40:41], v[40:41], s[28:29], -v[70:71]
	v_add_f64 v[0:1], v[0:1], v[24:25]
	v_fma_f64 v[28:29], v[28:29], s[28:29], v[30:31]
	v_fma_f64 v[68:69], v[54:55], s[6:7], -v[74:75]
	v_add_f64 v[86:87], v[92:93], v[86:87]
	v_mul_f64 v[30:31], v[62:63], s[24:25]
	v_add_f64 v[78:79], v[106:107], v[90:91]
	v_fma_f64 v[90:91], v[60:61], s[0:1], v[112:113]
	v_add_f64 v[102:103], v[114:115], v[102:103]
	v_fma_f64 v[104:105], v[26:27], s[0:1], -v[116:117]
	v_add_f64 v[96:97], v[118:119], v[96:97]
	v_fma_f64 v[106:107], v[60:61], s[20:21], v[76:77]
	v_fma_f64 v[92:93], v[60:61], s[28:29], -v[108:109]
	v_fma_f64 v[108:109], v[26:27], s[28:29], v[110:111]
	v_add_f64 v[70:71], v[120:121], v[100:101]
	v_fma_f64 v[100:101], v[26:27], s[20:21], -v[32:33]
	v_add_f64 v[34:35], v[94:95], v[34:35]
	v_add_f64 v[72:73], v[126:127], v[72:73]
	v_mul_f64 v[94:95], v[64:65], s[24:25]
	v_mul_f64 v[62:63], v[62:63], s[18:19]
	v_add_f64 v[14:15], v[18:19], v[14:15]
	v_fma_f64 v[18:19], v[60:61], s[0:1], -v[112:113]
	v_mul_f64 v[64:65], v[64:65], s[18:19]
	v_fma_f64 v[110:111], v[26:27], s[0:1], v[116:117]
	v_fma_f64 v[60:61], v[60:61], s[20:21], -v[76:77]
	v_add_f64 v[2:3], v[40:41], v[2:3]
	v_fma_f64 v[26:27], v[26:27], s[20:21], v[32:33]
	v_add_f64 v[0:1], v[28:29], v[0:1]
	v_fma_f64 v[122:123], v[58:59], s[0:1], v[122:123]
	v_mul_f64 v[24:25], v[52:53], s[22:23]
	v_add_f64 v[68:69], v[68:69], v[88:89]
	v_add_f64 v[78:79], v[90:91], v[78:79]
	;; [unrolled: 1-line block ×4, first 2 shown]
	v_mul_f64 v[40:41], v[56:57], s[22:23]
	v_mul_f64 v[96:97], v[52:53], s[18:19]
	;; [unrolled: 1-line block ×3, first 2 shown]
	v_add_f64 v[70:71], v[100:101], v[70:71]
	v_fma_f64 v[28:29], v[58:59], s[20:21], v[30:31]
	v_add_f64 v[86:87], v[92:93], v[86:87]
	v_add_f64 v[34:35], v[108:109], v[34:35]
	v_mul_f64 v[100:101], v[52:53], s[14:15]
	v_fma_f64 v[98:99], v[58:59], s[6:7], -v[98:99]
	v_add_f64 v[18:19], v[18:19], v[72:73]
	v_fma_f64 v[72:73], v[58:59], s[16:17], v[62:63]
	v_fma_f64 v[102:103], v[54:55], s[16:17], -v[64:65]
	v_fma_f64 v[30:31], v[58:59], s[20:21], -v[30:31]
	;; [unrolled: 1-line block ×3, first 2 shown]
	v_mul_f64 v[62:63], v[56:57], s[14:15]
	v_mul_f64 v[52:53], v[52:53], s[8:9]
	;; [unrolled: 1-line block ×3, first 2 shown]
	v_fma_f64 v[74:75], v[54:55], s[6:7], v[74:75]
	v_fma_f64 v[92:93], v[54:55], s[20:21], -v[94:95]
	v_add_f64 v[14:15], v[110:111], v[14:15]
	v_add_f64 v[2:3], v[60:61], v[2:3]
	v_fma_f64 v[94:95], v[54:55], s[20:21], v[94:95]
	v_fma_f64 v[54:55], v[54:55], s[16:17], v[64:65]
	v_add_f64 v[0:1], v[26:27], v[0:1]
	v_fma_f64 v[64:65], v[48:49], s[28:29], -v[84:85]
	v_fma_f64 v[26:27], v[50:51], s[28:29], v[124:125]
	v_add_f64 v[28:29], v[28:29], v[78:79]
	v_fma_f64 v[76:77], v[48:49], s[20:21], -v[24:25]
	v_fma_f64 v[24:25], v[48:49], s[20:21], v[24:25]
	v_fma_f64 v[60:61], v[50:51], s[20:21], v[40:41]
	v_add_f64 v[86:87], v[98:99], v[86:87]
	v_fma_f64 v[40:41], v[50:51], s[20:21], -v[40:41]
	v_add_f64 v[72:73], v[72:73], v[90:91]
	v_fma_f64 v[90:91], v[48:49], s[6:7], v[100:101]
	v_add_f64 v[70:71], v[102:103], v[70:71]
	v_fma_f64 v[78:79], v[48:49], s[16:17], v[96:97]
	v_fma_f64 v[102:103], v[50:51], s[6:7], -v[62:63]
	v_fma_f64 v[98:99], v[48:49], s[0:1], v[52:53]
	v_add_f64 v[36:37], v[122:123], v[36:37]
	v_add_f64 v[74:75], v[74:75], v[34:35]
	v_fma_f64 v[34:35], v[50:51], s[0:1], -v[56:57]
	v_add_f64 v[88:89], v[92:93], v[88:89]
	v_fma_f64 v[92:93], v[50:51], s[16:17], -v[32:33]
	v_fma_f64 v[84:85], v[48:49], s[28:29], v[84:85]
	v_fma_f64 v[104:105], v[50:51], s[28:29], -v[124:125]
	v_fma_f64 v[96:97], v[48:49], s[16:17], -v[96:97]
	v_fma_f64 v[32:33], v[50:51], s[16:17], v[32:33]
	v_add_f64 v[106:107], v[30:31], v[18:19]
	v_add_f64 v[94:95], v[94:95], v[14:15]
	v_fma_f64 v[100:101], v[48:49], s[6:7], -v[100:101]
	v_fma_f64 v[48:49], v[48:49], s[0:1], -v[52:53]
	v_add_f64 v[52:53], v[58:59], v[2:3]
	v_fma_f64 v[58:59], v[50:51], s[6:7], v[62:63]
	v_fma_f64 v[50:51], v[50:51], s[0:1], v[56:57]
	v_add_f64 v[54:55], v[54:55], v[0:1]
	v_add_f64 v[2:3], v[6:7], v[10:11]
	;; [unrolled: 1-line block ×23, first 2 shown]
	v_mad_u32_u24 v48, 0xb0, v66, 0
	ds_write_b128 v48, v[0:3]
	ds_write_b128 v48, v[28:31] offset:16
	ds_write_b128 v48, v[24:27] offset:32
	;; [unrolled: 1-line block ×10, first 2 shown]
.LBB0_15:
	s_or_b32 exec_lo, exec_lo, s33
	s_waitcnt vmcnt(10)
	v_and_b32_e32 v0, 0xff, v66
	s_waitcnt vmcnt(0) lgkmcnt(0)
	s_barrier
	buffer_gl0_inv
	s_mov_b32 s0, 0x134454ff
	v_mul_lo_u16 v0, 0x75, v0
	s_mov_b32 s1, 0x3fee6f0e
	s_mov_b32 s7, 0xbfee6f0e
	;; [unrolled: 1-line block ×4, first 2 shown]
	v_lshrrev_b16 v0, 8, v0
	s_mov_b32 s15, 0x3fe2cf23
	s_mov_b32 s17, 0xbfe2cf23
	;; [unrolled: 1-line block ×4, first 2 shown]
	v_sub_nc_u16 v1, v66, v0
	s_mov_b32 s9, 0x3fd3c6ef
	v_lshrrev_b16 v1, 1, v1
	v_and_b32_e32 v1, 0x7f, v1
	v_add_nc_u16 v0, v1, v0
	v_mov_b32_e32 v1, 6
	v_lshrrev_b16 v43, 3, v0
	v_mul_lo_u16 v0, v43, 11
	v_sub_nc_u16 v58, v66, v0
	v_lshlrev_b32_sdwa v0, v1, v58 dst_sel:DWORD dst_unused:UNUSED_PAD src0_sel:DWORD src1_sel:BYTE_0
	s_clause 0x3
	global_load_dwordx4 v[1:4], v0, s[12:13]
	global_load_dwordx4 v[5:8], v0, s[12:13] offset:16
	global_load_dwordx4 v[9:12], v0, s[12:13] offset:32
	;; [unrolled: 1-line block ×3, first 2 shown]
	v_lshl_add_u32 v0, v66, 4, 0
	ds_read_b128 v[17:20], v0 offset:880
	ds_read_b128 v[21:24], v0 offset:1760
	;; [unrolled: 1-line block ×4, first 2 shown]
	s_waitcnt vmcnt(3) lgkmcnt(3)
	v_mul_f64 v[33:34], v[19:20], v[3:4]
	s_waitcnt vmcnt(2) lgkmcnt(2)
	v_mul_f64 v[35:36], v[23:24], v[7:8]
	;; [unrolled: 2-line block ×4, first 2 shown]
	v_mul_f64 v[7:8], v[21:22], v[7:8]
	v_mul_f64 v[11:12], v[25:26], v[11:12]
	;; [unrolled: 1-line block ×4, first 2 shown]
	v_fma_f64 v[17:18], v[17:18], v[1:2], -v[33:34]
	v_fma_f64 v[21:22], v[21:22], v[5:6], -v[35:36]
	;; [unrolled: 1-line block ×4, first 2 shown]
	v_fma_f64 v[5:6], v[23:24], v[5:6], v[7:8]
	v_fma_f64 v[7:8], v[27:28], v[9:10], v[11:12]
	;; [unrolled: 1-line block ×4, first 2 shown]
	ds_read_b128 v[1:4], v0
	s_waitcnt lgkmcnt(0)
	s_barrier
	buffer_gl0_inv
	v_add_f64 v[11:12], v[21:22], v[25:26]
	v_add_f64 v[13:14], v[17:18], v[29:30]
	v_add_f64 v[37:38], v[17:18], -v[29:30]
	v_add_f64 v[15:16], v[5:6], v[7:8]
	v_add_f64 v[27:28], v[1:2], v[17:18]
	;; [unrolled: 1-line block ×4, first 2 shown]
	v_add_f64 v[31:32], v[19:20], -v[9:10]
	v_add_f64 v[33:34], v[5:6], -v[7:8]
	;; [unrolled: 1-line block ×8, first 2 shown]
	v_fma_f64 v[11:12], v[11:12], -0.5, v[1:2]
	v_fma_f64 v[1:2], v[13:14], -0.5, v[1:2]
	v_add_f64 v[13:14], v[21:22], -v[25:26]
	v_fma_f64 v[15:16], v[15:16], -0.5, v[3:4]
	v_fma_f64 v[3:4], v[23:24], -0.5, v[3:4]
	v_add_f64 v[23:24], v[17:18], -v[21:22]
	v_add_f64 v[17:18], v[21:22], -v[17:18]
	v_add_f64 v[21:22], v[27:28], v[21:22]
	v_add_f64 v[5:6], v[35:36], v[5:6]
	;; [unrolled: 1-line block ×3, first 2 shown]
	v_fma_f64 v[27:28], v[31:32], s[0:1], v[11:12]
	v_fma_f64 v[35:36], v[33:34], s[6:7], v[1:2]
	;; [unrolled: 1-line block ×8, first 2 shown]
	v_add_f64 v[21:22], v[21:22], v[25:26]
	v_add_f64 v[5:6], v[5:6], v[7:8]
	;; [unrolled: 1-line block ×5, first 2 shown]
	v_fma_f64 v[7:8], v[33:34], s[14:15], v[27:28]
	v_fma_f64 v[25:26], v[31:32], s[14:15], v[35:36]
	;; [unrolled: 1-line block ×8, first 2 shown]
	v_add_f64 v[1:2], v[21:22], v[29:30]
	v_add_f64 v[3:4], v[5:6], v[9:10]
	v_mov_b32_e32 v21, 0x370
	v_mov_b32_e32 v22, 4
	v_mul_u32_u24_sdwa v21, v43, v21 dst_sel:DWORD dst_unused:UNUSED_PAD src0_sel:WORD_0 src1_sel:DWORD
	v_lshlrev_b32_sdwa v22, v22, v58 dst_sel:DWORD dst_unused:UNUSED_PAD src0_sel:DWORD src1_sel:BYTE_0
	v_add3_u32 v21, 0, v21, v22
	v_fma_f64 v[5:6], v[23:24], s[8:9], v[7:8]
	v_fma_f64 v[13:14], v[17:18], s[8:9], v[25:26]
	;; [unrolled: 1-line block ×8, first 2 shown]
	ds_write_b128 v21, v[1:4]
	ds_write_b128 v21, v[5:8] offset:176
	ds_write_b128 v21, v[13:16] offset:352
	;; [unrolled: 1-line block ×4, first 2 shown]
	s_waitcnt lgkmcnt(0)
	s_barrier
	buffer_gl0_inv
	s_and_saveexec_b32 s18, vcc_lo
	s_cbranch_execz .LBB0_17
; %bb.16:
	v_lshlrev_b32_e32 v1, 2, v66
	v_mov_b32_e32 v2, 0
	v_add_nc_u32_e32 v55, 0x6e, v67
	v_add_nc_u32_e32 v54, 55, v67
	;; [unrolled: 1-line block ×4, first 2 shown]
	v_lshlrev_b64 v[1:2], 4, v[1:2]
	v_add_co_u32 v13, vcc_lo, s12, v1
	v_add_co_ci_u32_e32 v14, vcc_lo, s13, v2, vcc_lo
	s_clause 0x3
	global_load_dwordx4 v[1:4], v[13:14], off offset:704
	global_load_dwordx4 v[5:8], v[13:14], off offset:752
	;; [unrolled: 1-line block ×4, first 2 shown]
	ds_read_b128 v[17:20], v0 offset:880
	ds_read_b128 v[21:24], v0 offset:3520
	;; [unrolled: 1-line block ×4, first 2 shown]
	ds_read_b128 v[33:36], v0
	s_waitcnt vmcnt(3) lgkmcnt(4)
	v_mul_f64 v[37:38], v[1:2], v[19:20]
	s_waitcnt vmcnt(2) lgkmcnt(3)
	v_mul_f64 v[39:40], v[5:6], v[23:24]
	;; [unrolled: 2-line block ×4, first 2 shown]
	v_mul_f64 v[19:20], v[3:4], v[19:20]
	v_mul_f64 v[23:24], v[7:8], v[23:24]
	;; [unrolled: 1-line block ×4, first 2 shown]
	v_fma_f64 v[3:4], v[3:4], v[17:18], v[37:38]
	v_fma_f64 v[7:8], v[7:8], v[21:22], v[39:40]
	;; [unrolled: 1-line block ×4, first 2 shown]
	v_fma_f64 v[0:1], v[17:18], v[1:2], -v[19:20]
	v_fma_f64 v[5:6], v[21:22], v[5:6], -v[23:24]
	;; [unrolled: 1-line block ×4, first 2 shown]
	v_mad_u64_u32 v[19:20], null, s2, v67, 0
	v_mad_u64_u32 v[31:32], null, s2, v55, 0
	v_mul_lo_u32 v41, s5, v46
	v_mul_lo_u32 v42, s4, v47
	v_mad_u64_u32 v[17:18], null, s4, v46, 0
	v_mov_b32_e32 v2, v20
	v_lshlrev_b64 v[21:22], 4, v[44:45]
	v_mov_b32_e32 v20, v32
	v_mad_u64_u32 v[25:26], null, s2, v54, 0
	v_mad_u64_u32 v[39:40], null, s2, v71, 0
	v_add_f64 v[23:24], v[3:4], v[7:8]
	v_mad_u64_u32 v[43:44], null, s3, v67, v[2:3]
	v_add_f64 v[27:28], v[11:12], v[15:16]
	v_add_f64 v[29:30], v[0:1], v[5:6]
	s_waitcnt lgkmcnt(0)
	v_add_f64 v[46:47], v[3:4], v[35:36]
	v_add_f64 v[37:38], v[9:10], v[13:14]
	;; [unrolled: 1-line block ×3, first 2 shown]
	v_add_f64 v[50:51], v[0:1], -v[5:6]
	v_add_f64 v[44:45], v[9:10], -v[13:14]
	;; [unrolled: 1-line block ×3, first 2 shown]
	v_mov_b32_e32 v2, v26
	v_add_f64 v[57:58], v[15:16], -v[7:8]
	v_add_f64 v[59:60], v[7:8], -v[15:16]
	;; [unrolled: 1-line block ×6, first 2 shown]
	v_add3_u32 v18, v18, v42, v41
	v_mad_u64_u32 v[41:42], null, s2, v73, 0
	v_mov_b32_e32 v26, v40
	v_fma_f64 v[23:24], v[23:24], -0.5, v[35:36]
	v_lshlrev_b64 v[17:18], 4, v[17:18]
	v_fma_f64 v[27:28], v[27:28], -0.5, v[35:36]
	v_fma_f64 v[29:30], v[29:30], -0.5, v[33:34]
	v_add_f64 v[35:36], v[11:12], -v[15:16]
	v_fma_f64 v[32:33], v[37:38], -0.5, v[33:34]
	v_mad_u64_u32 v[37:38], null, s3, v54, v[2:3]
	v_mad_u64_u32 v[54:55], null, s3, v55, v[20:21]
	v_add_f64 v[55:56], v[11:12], -v[3:4]
	v_add_f64 v[2:3], v[3:4], -v[11:12]
	v_add_f64 v[11:12], v[11:12], v[46:47]
	v_add_f64 v[9:10], v[9:10], v[48:49]
	v_mov_b32_e32 v34, v42
	v_add_co_u32 v4, vcc_lo, s10, v17
	v_mov_b32_e32 v20, v43
	v_fma_f64 v[46:47], v[44:45], s[6:7], v[23:24]
	v_fma_f64 v[23:24], v[44:45], s[0:1], v[23:24]
	;; [unrolled: 1-line block ×8, first 2 shown]
	v_add_f64 v[9:10], v[13:14], v[9:10]
	v_fma_f64 v[13:14], v[50:51], s[16:17], v[23:24]
	v_mad_u64_u32 v[71:72], null, s3, v71, v[26:27]
	v_add_co_ci_u32_e32 v26, vcc_lo, s11, v18, vcc_lo
	v_add_f64 v[17:18], v[55:56], v[57:58]
	v_add_f64 v[55:56], v[2:3], v[59:60]
	;; [unrolled: 1-line block ×4, first 2 shown]
	v_mad_u64_u32 v[72:73], null, s3, v73, v[34:35]
	v_fma_f64 v[11:12], v[50:51], s[14:15], v[46:47]
	v_fma_f64 v[15:16], v[44:45], s[14:15], v[48:49]
	v_fma_f64 v[23:24], v[44:45], s[16:17], v[27:28]
	v_fma_f64 v[33:34], v[35:36], s[14:15], v[32:33]
	v_add_f64 v[57:58], v[61:62], v[63:64]
	v_fma_f64 v[29:30], v[52:53], s[14:15], v[29:30]
	v_fma_f64 v[27:28], v[52:53], s[16:17], v[67:68]
	;; [unrolled: 1-line block ×3, first 2 shown]
	v_add_co_u32 v45, vcc_lo, v4, v21
	v_add_co_ci_u32_e32 v46, vcc_lo, v26, v22, vcc_lo
	v_mov_b32_e32 v26, v37
	v_lshlrev_b64 v[20:21], 4, v[19:20]
	v_mov_b32_e32 v32, v54
	v_mov_b32_e32 v40, v71
	;; [unrolled: 1-line block ×3, first 2 shown]
	v_lshlrev_b64 v[25:26], 4, v[25:26]
	v_add_f64 v[2:3], v[7:8], v[0:1]
	v_add_f64 v[0:1], v[5:6], v[9:10]
	v_lshlrev_b64 v[31:32], 4, v[31:32]
	v_fma_f64 v[6:7], v[17:18], s[8:9], v[11:12]
	v_fma_f64 v[10:11], v[17:18], s[8:9], v[13:14]
	;; [unrolled: 1-line block ×8, first 2 shown]
	v_add_co_u32 v20, vcc_lo, v45, v20
	v_add_co_ci_u32_e32 v21, vcc_lo, v46, v21, vcc_lo
	v_lshlrev_b64 v[35:36], 4, v[39:40]
	v_add_co_u32 v22, vcc_lo, v45, v25
	v_add_co_ci_u32_e32 v23, vcc_lo, v46, v26, vcc_lo
	v_lshlrev_b64 v[37:38], 4, v[41:42]
	v_add_co_u32 v24, vcc_lo, v45, v31
	v_add_co_ci_u32_e32 v25, vcc_lo, v46, v32, vcc_lo
	v_add_co_u32 v26, vcc_lo, v45, v35
	v_add_co_ci_u32_e32 v27, vcc_lo, v46, v36, vcc_lo
	;; [unrolled: 2-line block ×3, first 2 shown]
	global_store_dwordx4 v[20:21], v[0:3], off
	global_store_dwordx4 v[22:23], v[16:19], off
	;; [unrolled: 1-line block ×5, first 2 shown]
.LBB0_17:
	s_endpgm
	.section	.rodata,"a",@progbits
	.p2align	6, 0x0
	.amdhsa_kernel fft_rtc_fwd_len275_factors_11_5_5_wgs_55_tpt_55_dp_op_CI_CI_sbrr_dirReg
		.amdhsa_group_segment_fixed_size 0
		.amdhsa_private_segment_fixed_size 0
		.amdhsa_kernarg_size 104
		.amdhsa_user_sgpr_count 6
		.amdhsa_user_sgpr_private_segment_buffer 1
		.amdhsa_user_sgpr_dispatch_ptr 0
		.amdhsa_user_sgpr_queue_ptr 0
		.amdhsa_user_sgpr_kernarg_segment_ptr 1
		.amdhsa_user_sgpr_dispatch_id 0
		.amdhsa_user_sgpr_flat_scratch_init 0
		.amdhsa_user_sgpr_private_segment_size 0
		.amdhsa_wavefront_size32 1
		.amdhsa_uses_dynamic_stack 0
		.amdhsa_system_sgpr_private_segment_wavefront_offset 0
		.amdhsa_system_sgpr_workgroup_id_x 1
		.amdhsa_system_sgpr_workgroup_id_y 0
		.amdhsa_system_sgpr_workgroup_id_z 0
		.amdhsa_system_sgpr_workgroup_info 0
		.amdhsa_system_vgpr_workitem_id 0
		.amdhsa_next_free_vgpr 128
		.amdhsa_next_free_sgpr 36
		.amdhsa_reserve_vcc 1
		.amdhsa_reserve_flat_scratch 0
		.amdhsa_float_round_mode_32 0
		.amdhsa_float_round_mode_16_64 0
		.amdhsa_float_denorm_mode_32 3
		.amdhsa_float_denorm_mode_16_64 3
		.amdhsa_dx10_clamp 1
		.amdhsa_ieee_mode 1
		.amdhsa_fp16_overflow 0
		.amdhsa_workgroup_processor_mode 1
		.amdhsa_memory_ordered 1
		.amdhsa_forward_progress 0
		.amdhsa_shared_vgpr_count 0
		.amdhsa_exception_fp_ieee_invalid_op 0
		.amdhsa_exception_fp_denorm_src 0
		.amdhsa_exception_fp_ieee_div_zero 0
		.amdhsa_exception_fp_ieee_overflow 0
		.amdhsa_exception_fp_ieee_underflow 0
		.amdhsa_exception_fp_ieee_inexact 0
		.amdhsa_exception_int_div_zero 0
	.end_amdhsa_kernel
	.text
.Lfunc_end0:
	.size	fft_rtc_fwd_len275_factors_11_5_5_wgs_55_tpt_55_dp_op_CI_CI_sbrr_dirReg, .Lfunc_end0-fft_rtc_fwd_len275_factors_11_5_5_wgs_55_tpt_55_dp_op_CI_CI_sbrr_dirReg
                                        ; -- End function
	.section	.AMDGPU.csdata,"",@progbits
; Kernel info:
; codeLenInByte = 6696
; NumSgprs: 38
; NumVgprs: 128
; ScratchSize: 0
; MemoryBound: 1
; FloatMode: 240
; IeeeMode: 1
; LDSByteSize: 0 bytes/workgroup (compile time only)
; SGPRBlocks: 4
; VGPRBlocks: 15
; NumSGPRsForWavesPerEU: 38
; NumVGPRsForWavesPerEU: 128
; Occupancy: 8
; WaveLimiterHint : 1
; COMPUTE_PGM_RSRC2:SCRATCH_EN: 0
; COMPUTE_PGM_RSRC2:USER_SGPR: 6
; COMPUTE_PGM_RSRC2:TRAP_HANDLER: 0
; COMPUTE_PGM_RSRC2:TGID_X_EN: 1
; COMPUTE_PGM_RSRC2:TGID_Y_EN: 0
; COMPUTE_PGM_RSRC2:TGID_Z_EN: 0
; COMPUTE_PGM_RSRC2:TIDIG_COMP_CNT: 0
	.text
	.p2alignl 6, 3214868480
	.fill 48, 4, 3214868480
	.type	__hip_cuid_ba12f487b6ac4b75,@object ; @__hip_cuid_ba12f487b6ac4b75
	.section	.bss,"aw",@nobits
	.globl	__hip_cuid_ba12f487b6ac4b75
__hip_cuid_ba12f487b6ac4b75:
	.byte	0                               ; 0x0
	.size	__hip_cuid_ba12f487b6ac4b75, 1

	.ident	"AMD clang version 19.0.0git (https://github.com/RadeonOpenCompute/llvm-project roc-6.4.0 25133 c7fe45cf4b819c5991fe208aaa96edf142730f1d)"
	.section	".note.GNU-stack","",@progbits
	.addrsig
	.addrsig_sym __hip_cuid_ba12f487b6ac4b75
	.amdgpu_metadata
---
amdhsa.kernels:
  - .args:
      - .actual_access:  read_only
        .address_space:  global
        .offset:         0
        .size:           8
        .value_kind:     global_buffer
      - .offset:         8
        .size:           8
        .value_kind:     by_value
      - .actual_access:  read_only
        .address_space:  global
        .offset:         16
        .size:           8
        .value_kind:     global_buffer
      - .actual_access:  read_only
        .address_space:  global
        .offset:         24
        .size:           8
        .value_kind:     global_buffer
      - .actual_access:  read_only
        .address_space:  global
        .offset:         32
        .size:           8
        .value_kind:     global_buffer
      - .offset:         40
        .size:           8
        .value_kind:     by_value
      - .actual_access:  read_only
        .address_space:  global
        .offset:         48
        .size:           8
        .value_kind:     global_buffer
      - .actual_access:  read_only
        .address_space:  global
        .offset:         56
        .size:           8
        .value_kind:     global_buffer
      - .offset:         64
        .size:           4
        .value_kind:     by_value
      - .actual_access:  read_only
        .address_space:  global
        .offset:         72
        .size:           8
        .value_kind:     global_buffer
      - .actual_access:  read_only
        .address_space:  global
        .offset:         80
        .size:           8
        .value_kind:     global_buffer
      - .actual_access:  read_only
        .address_space:  global
        .offset:         88
        .size:           8
        .value_kind:     global_buffer
      - .actual_access:  write_only
        .address_space:  global
        .offset:         96
        .size:           8
        .value_kind:     global_buffer
    .group_segment_fixed_size: 0
    .kernarg_segment_align: 8
    .kernarg_segment_size: 104
    .language:       OpenCL C
    .language_version:
      - 2
      - 0
    .max_flat_workgroup_size: 55
    .name:           fft_rtc_fwd_len275_factors_11_5_5_wgs_55_tpt_55_dp_op_CI_CI_sbrr_dirReg
    .private_segment_fixed_size: 0
    .sgpr_count:     38
    .sgpr_spill_count: 0
    .symbol:         fft_rtc_fwd_len275_factors_11_5_5_wgs_55_tpt_55_dp_op_CI_CI_sbrr_dirReg.kd
    .uniform_work_group_size: 1
    .uses_dynamic_stack: false
    .vgpr_count:     128
    .vgpr_spill_count: 0
    .wavefront_size: 32
    .workgroup_processor_mode: 1
amdhsa.target:   amdgcn-amd-amdhsa--gfx1030
amdhsa.version:
  - 1
  - 2
...

	.end_amdgpu_metadata
